;; amdgpu-corpus repo=ROCm/rocFFT kind=compiled arch=gfx1100 opt=O3
	.text
	.amdgcn_target "amdgcn-amd-amdhsa--gfx1100"
	.amdhsa_code_object_version 6
	.protected	fft_rtc_fwd_len924_factors_2_2_3_7_11_wgs_44_tpt_44_halfLds_half_ip_CI_unitstride_sbrr_dirReg ; -- Begin function fft_rtc_fwd_len924_factors_2_2_3_7_11_wgs_44_tpt_44_halfLds_half_ip_CI_unitstride_sbrr_dirReg
	.globl	fft_rtc_fwd_len924_factors_2_2_3_7_11_wgs_44_tpt_44_halfLds_half_ip_CI_unitstride_sbrr_dirReg
	.p2align	8
	.type	fft_rtc_fwd_len924_factors_2_2_3_7_11_wgs_44_tpt_44_halfLds_half_ip_CI_unitstride_sbrr_dirReg,@function
fft_rtc_fwd_len924_factors_2_2_3_7_11_wgs_44_tpt_44_halfLds_half_ip_CI_unitstride_sbrr_dirReg: ; @fft_rtc_fwd_len924_factors_2_2_3_7_11_wgs_44_tpt_44_halfLds_half_ip_CI_unitstride_sbrr_dirReg
; %bb.0:
	s_clause 0x2
	s_load_b128 s[4:7], s[0:1], 0x0
	s_load_b64 s[8:9], s[0:1], 0x50
	s_load_b64 s[10:11], s[0:1], 0x18
	v_mul_u32_u24_e32 v1, 0x5d2, v0
	v_mov_b32_e32 v3, 0
	v_mov_b32_e32 v4, 0
	s_delay_alu instid0(VALU_DEP_3) | instskip(SKIP_1) | instid1(VALU_DEP_1)
	v_lshrrev_b32_e32 v2, 16, v1
	v_mov_b32_e32 v1, 0
	v_dual_mov_b32 v6, v1 :: v_dual_add_nc_u32 v5, s15, v2
	s_waitcnt lgkmcnt(0)
	v_cmp_lt_u64_e64 s2, s[6:7], 2
	s_delay_alu instid0(VALU_DEP_1)
	s_and_b32 vcc_lo, exec_lo, s2
	s_cbranch_vccnz .LBB0_8
; %bb.1:
	s_load_b64 s[2:3], s[0:1], 0x10
	v_mov_b32_e32 v3, 0
	s_add_u32 s12, s10, 8
	v_mov_b32_e32 v4, 0
	s_addc_u32 s13, s11, 0
	s_mov_b64 s[16:17], 1
	s_waitcnt lgkmcnt(0)
	s_add_u32 s14, s2, 8
	s_addc_u32 s15, s3, 0
.LBB0_2:                                ; =>This Inner Loop Header: Depth=1
	s_load_b64 s[18:19], s[14:15], 0x0
                                        ; implicit-def: $vgpr7_vgpr8
	s_mov_b32 s2, exec_lo
	s_waitcnt lgkmcnt(0)
	v_or_b32_e32 v2, s19, v6
	s_delay_alu instid0(VALU_DEP_1)
	v_cmpx_ne_u64_e32 0, v[1:2]
	s_xor_b32 s3, exec_lo, s2
	s_cbranch_execz .LBB0_4
; %bb.3:                                ;   in Loop: Header=BB0_2 Depth=1
	v_cvt_f32_u32_e32 v2, s18
	v_cvt_f32_u32_e32 v7, s19
	s_sub_u32 s2, 0, s18
	s_subb_u32 s20, 0, s19
	s_delay_alu instid0(VALU_DEP_1) | instskip(NEXT) | instid1(VALU_DEP_1)
	v_fmac_f32_e32 v2, 0x4f800000, v7
	v_rcp_f32_e32 v2, v2
	s_waitcnt_depctr 0xfff
	v_mul_f32_e32 v2, 0x5f7ffffc, v2
	s_delay_alu instid0(VALU_DEP_1) | instskip(NEXT) | instid1(VALU_DEP_1)
	v_mul_f32_e32 v7, 0x2f800000, v2
	v_trunc_f32_e32 v7, v7
	s_delay_alu instid0(VALU_DEP_1) | instskip(SKIP_1) | instid1(VALU_DEP_2)
	v_fmac_f32_e32 v2, 0xcf800000, v7
	v_cvt_u32_f32_e32 v7, v7
	v_cvt_u32_f32_e32 v2, v2
	s_delay_alu instid0(VALU_DEP_2) | instskip(NEXT) | instid1(VALU_DEP_2)
	v_mul_lo_u32 v8, s2, v7
	v_mul_hi_u32 v9, s2, v2
	v_mul_lo_u32 v10, s20, v2
	s_delay_alu instid0(VALU_DEP_2) | instskip(SKIP_1) | instid1(VALU_DEP_2)
	v_add_nc_u32_e32 v8, v9, v8
	v_mul_lo_u32 v9, s2, v2
	v_add_nc_u32_e32 v8, v8, v10
	s_delay_alu instid0(VALU_DEP_2) | instskip(NEXT) | instid1(VALU_DEP_2)
	v_mul_hi_u32 v10, v2, v9
	v_mul_lo_u32 v11, v2, v8
	v_mul_hi_u32 v12, v2, v8
	v_mul_hi_u32 v13, v7, v9
	v_mul_lo_u32 v9, v7, v9
	v_mul_hi_u32 v14, v7, v8
	v_mul_lo_u32 v8, v7, v8
	v_add_co_u32 v10, vcc_lo, v10, v11
	v_add_co_ci_u32_e32 v11, vcc_lo, 0, v12, vcc_lo
	s_delay_alu instid0(VALU_DEP_2) | instskip(NEXT) | instid1(VALU_DEP_2)
	v_add_co_u32 v9, vcc_lo, v10, v9
	v_add_co_ci_u32_e32 v9, vcc_lo, v11, v13, vcc_lo
	v_add_co_ci_u32_e32 v10, vcc_lo, 0, v14, vcc_lo
	s_delay_alu instid0(VALU_DEP_2) | instskip(NEXT) | instid1(VALU_DEP_2)
	v_add_co_u32 v8, vcc_lo, v9, v8
	v_add_co_ci_u32_e32 v9, vcc_lo, 0, v10, vcc_lo
	s_delay_alu instid0(VALU_DEP_2) | instskip(NEXT) | instid1(VALU_DEP_2)
	v_add_co_u32 v2, vcc_lo, v2, v8
	v_add_co_ci_u32_e32 v7, vcc_lo, v7, v9, vcc_lo
	s_delay_alu instid0(VALU_DEP_2) | instskip(SKIP_1) | instid1(VALU_DEP_3)
	v_mul_hi_u32 v8, s2, v2
	v_mul_lo_u32 v10, s20, v2
	v_mul_lo_u32 v9, s2, v7
	s_delay_alu instid0(VALU_DEP_1) | instskip(SKIP_1) | instid1(VALU_DEP_2)
	v_add_nc_u32_e32 v8, v8, v9
	v_mul_lo_u32 v9, s2, v2
	v_add_nc_u32_e32 v8, v8, v10
	s_delay_alu instid0(VALU_DEP_2) | instskip(NEXT) | instid1(VALU_DEP_2)
	v_mul_hi_u32 v10, v2, v9
	v_mul_lo_u32 v11, v2, v8
	v_mul_hi_u32 v12, v2, v8
	v_mul_hi_u32 v13, v7, v9
	v_mul_lo_u32 v9, v7, v9
	v_mul_hi_u32 v14, v7, v8
	v_mul_lo_u32 v8, v7, v8
	v_add_co_u32 v10, vcc_lo, v10, v11
	v_add_co_ci_u32_e32 v11, vcc_lo, 0, v12, vcc_lo
	s_delay_alu instid0(VALU_DEP_2) | instskip(NEXT) | instid1(VALU_DEP_2)
	v_add_co_u32 v9, vcc_lo, v10, v9
	v_add_co_ci_u32_e32 v9, vcc_lo, v11, v13, vcc_lo
	v_add_co_ci_u32_e32 v10, vcc_lo, 0, v14, vcc_lo
	s_delay_alu instid0(VALU_DEP_2) | instskip(NEXT) | instid1(VALU_DEP_2)
	v_add_co_u32 v8, vcc_lo, v9, v8
	v_add_co_ci_u32_e32 v9, vcc_lo, 0, v10, vcc_lo
	s_delay_alu instid0(VALU_DEP_2) | instskip(NEXT) | instid1(VALU_DEP_2)
	v_add_co_u32 v2, vcc_lo, v2, v8
	v_add_co_ci_u32_e32 v13, vcc_lo, v7, v9, vcc_lo
	s_delay_alu instid0(VALU_DEP_2) | instskip(SKIP_1) | instid1(VALU_DEP_3)
	v_mul_hi_u32 v14, v5, v2
	v_mad_u64_u32 v[9:10], null, v6, v2, 0
	v_mad_u64_u32 v[7:8], null, v5, v13, 0
	;; [unrolled: 1-line block ×3, first 2 shown]
	s_delay_alu instid0(VALU_DEP_2) | instskip(NEXT) | instid1(VALU_DEP_3)
	v_add_co_u32 v2, vcc_lo, v14, v7
	v_add_co_ci_u32_e32 v7, vcc_lo, 0, v8, vcc_lo
	s_delay_alu instid0(VALU_DEP_2) | instskip(NEXT) | instid1(VALU_DEP_2)
	v_add_co_u32 v2, vcc_lo, v2, v9
	v_add_co_ci_u32_e32 v2, vcc_lo, v7, v10, vcc_lo
	v_add_co_ci_u32_e32 v7, vcc_lo, 0, v12, vcc_lo
	s_delay_alu instid0(VALU_DEP_2) | instskip(NEXT) | instid1(VALU_DEP_2)
	v_add_co_u32 v2, vcc_lo, v2, v11
	v_add_co_ci_u32_e32 v9, vcc_lo, 0, v7, vcc_lo
	s_delay_alu instid0(VALU_DEP_2) | instskip(SKIP_1) | instid1(VALU_DEP_3)
	v_mul_lo_u32 v10, s19, v2
	v_mad_u64_u32 v[7:8], null, s18, v2, 0
	v_mul_lo_u32 v11, s18, v9
	s_delay_alu instid0(VALU_DEP_2) | instskip(NEXT) | instid1(VALU_DEP_2)
	v_sub_co_u32 v7, vcc_lo, v5, v7
	v_add3_u32 v8, v8, v11, v10
	s_delay_alu instid0(VALU_DEP_1) | instskip(NEXT) | instid1(VALU_DEP_1)
	v_sub_nc_u32_e32 v10, v6, v8
	v_subrev_co_ci_u32_e64 v10, s2, s19, v10, vcc_lo
	v_add_co_u32 v11, s2, v2, 2
	s_delay_alu instid0(VALU_DEP_1) | instskip(SKIP_3) | instid1(VALU_DEP_3)
	v_add_co_ci_u32_e64 v12, s2, 0, v9, s2
	v_sub_co_u32 v13, s2, v7, s18
	v_sub_co_ci_u32_e32 v8, vcc_lo, v6, v8, vcc_lo
	v_subrev_co_ci_u32_e64 v10, s2, 0, v10, s2
	v_cmp_le_u32_e32 vcc_lo, s18, v13
	s_delay_alu instid0(VALU_DEP_3) | instskip(SKIP_1) | instid1(VALU_DEP_4)
	v_cmp_eq_u32_e64 s2, s19, v8
	v_cndmask_b32_e64 v13, 0, -1, vcc_lo
	v_cmp_le_u32_e32 vcc_lo, s19, v10
	v_cndmask_b32_e64 v14, 0, -1, vcc_lo
	v_cmp_le_u32_e32 vcc_lo, s18, v7
	;; [unrolled: 2-line block ×3, first 2 shown]
	v_cndmask_b32_e64 v15, 0, -1, vcc_lo
	v_cmp_eq_u32_e32 vcc_lo, s19, v10
	s_delay_alu instid0(VALU_DEP_2) | instskip(SKIP_3) | instid1(VALU_DEP_3)
	v_cndmask_b32_e64 v7, v15, v7, s2
	v_cndmask_b32_e32 v10, v14, v13, vcc_lo
	v_add_co_u32 v13, vcc_lo, v2, 1
	v_add_co_ci_u32_e32 v14, vcc_lo, 0, v9, vcc_lo
	v_cmp_ne_u32_e32 vcc_lo, 0, v10
	s_delay_alu instid0(VALU_DEP_2) | instskip(NEXT) | instid1(VALU_DEP_4)
	v_cndmask_b32_e32 v8, v14, v12, vcc_lo
	v_cndmask_b32_e32 v10, v13, v11, vcc_lo
	v_cmp_ne_u32_e32 vcc_lo, 0, v7
	s_delay_alu instid0(VALU_DEP_2)
	v_dual_cndmask_b32 v7, v2, v10 :: v_dual_cndmask_b32 v8, v9, v8
.LBB0_4:                                ;   in Loop: Header=BB0_2 Depth=1
	s_and_not1_saveexec_b32 s2, s3
	s_cbranch_execz .LBB0_6
; %bb.5:                                ;   in Loop: Header=BB0_2 Depth=1
	v_cvt_f32_u32_e32 v2, s18
	s_sub_i32 s3, 0, s18
	s_delay_alu instid0(VALU_DEP_1) | instskip(SKIP_2) | instid1(VALU_DEP_1)
	v_rcp_iflag_f32_e32 v2, v2
	s_waitcnt_depctr 0xfff
	v_mul_f32_e32 v2, 0x4f7ffffe, v2
	v_cvt_u32_f32_e32 v2, v2
	s_delay_alu instid0(VALU_DEP_1) | instskip(NEXT) | instid1(VALU_DEP_1)
	v_mul_lo_u32 v7, s3, v2
	v_mul_hi_u32 v7, v2, v7
	s_delay_alu instid0(VALU_DEP_1) | instskip(NEXT) | instid1(VALU_DEP_1)
	v_add_nc_u32_e32 v2, v2, v7
	v_mul_hi_u32 v2, v5, v2
	s_delay_alu instid0(VALU_DEP_1) | instskip(SKIP_1) | instid1(VALU_DEP_2)
	v_mul_lo_u32 v7, v2, s18
	v_add_nc_u32_e32 v8, 1, v2
	v_sub_nc_u32_e32 v7, v5, v7
	s_delay_alu instid0(VALU_DEP_1) | instskip(SKIP_1) | instid1(VALU_DEP_2)
	v_subrev_nc_u32_e32 v9, s18, v7
	v_cmp_le_u32_e32 vcc_lo, s18, v7
	v_dual_cndmask_b32 v7, v7, v9 :: v_dual_cndmask_b32 v2, v2, v8
	s_delay_alu instid0(VALU_DEP_1) | instskip(NEXT) | instid1(VALU_DEP_2)
	v_cmp_le_u32_e32 vcc_lo, s18, v7
	v_add_nc_u32_e32 v8, 1, v2
	s_delay_alu instid0(VALU_DEP_1)
	v_dual_cndmask_b32 v7, v2, v8 :: v_dual_mov_b32 v8, v1
.LBB0_6:                                ;   in Loop: Header=BB0_2 Depth=1
	s_or_b32 exec_lo, exec_lo, s2
	s_load_b64 s[2:3], s[12:13], 0x0
	s_delay_alu instid0(VALU_DEP_1) | instskip(NEXT) | instid1(VALU_DEP_2)
	v_mul_lo_u32 v2, v8, s18
	v_mul_lo_u32 v11, v7, s19
	v_mad_u64_u32 v[9:10], null, v7, s18, 0
	s_add_u32 s16, s16, 1
	s_addc_u32 s17, s17, 0
	s_add_u32 s12, s12, 8
	s_addc_u32 s13, s13, 0
	;; [unrolled: 2-line block ×3, first 2 shown]
	s_delay_alu instid0(VALU_DEP_1) | instskip(SKIP_1) | instid1(VALU_DEP_2)
	v_add3_u32 v2, v10, v11, v2
	v_sub_co_u32 v9, vcc_lo, v5, v9
	v_sub_co_ci_u32_e32 v2, vcc_lo, v6, v2, vcc_lo
	s_waitcnt lgkmcnt(0)
	s_delay_alu instid0(VALU_DEP_2) | instskip(NEXT) | instid1(VALU_DEP_2)
	v_mul_lo_u32 v10, s3, v9
	v_mul_lo_u32 v2, s2, v2
	v_mad_u64_u32 v[5:6], null, s2, v9, v[3:4]
	v_cmp_ge_u64_e64 s2, s[16:17], s[6:7]
	s_delay_alu instid0(VALU_DEP_1) | instskip(NEXT) | instid1(VALU_DEP_2)
	s_and_b32 vcc_lo, exec_lo, s2
	v_add3_u32 v4, v10, v6, v2
	s_delay_alu instid0(VALU_DEP_3)
	v_mov_b32_e32 v3, v5
	s_cbranch_vccnz .LBB0_9
; %bb.7:                                ;   in Loop: Header=BB0_2 Depth=1
	v_dual_mov_b32 v5, v7 :: v_dual_mov_b32 v6, v8
	s_branch .LBB0_2
.LBB0_8:
	v_dual_mov_b32 v8, v6 :: v_dual_mov_b32 v7, v5
.LBB0_9:
	s_lshl_b64 s[2:3], s[6:7], 3
	v_mul_hi_u32 v5, 0x5d1745e, v0
	s_add_u32 s2, s10, s2
	s_addc_u32 s3, s11, s3
                                        ; implicit-def: $vgpr21
                                        ; implicit-def: $vgpr27
                                        ; implicit-def: $vgpr20
                                        ; implicit-def: $vgpr24
                                        ; implicit-def: $vgpr28
                                        ; implicit-def: $vgpr26
                                        ; implicit-def: $vgpr10
                                        ; implicit-def: $vgpr30
                                        ; implicit-def: $vgpr11
                                        ; implicit-def: $vgpr29
                                        ; implicit-def: $vgpr12
                                        ; implicit-def: $vgpr41
                                        ; implicit-def: $vgpr13
                                        ; implicit-def: $vgpr31
                                        ; implicit-def: $vgpr14
                                        ; implicit-def: $vgpr45
                                        ; implicit-def: $vgpr16
                                        ; implicit-def: $vgpr44
                                        ; implicit-def: $vgpr17
                                        ; implicit-def: $vgpr48
                                        ; implicit-def: $vgpr19
                                        ; implicit-def: $vgpr42
                                        ; implicit-def: $vgpr15
                                        ; implicit-def: $vgpr49
                                        ; implicit-def: $vgpr32
                                        ; implicit-def: $vgpr46
                                        ; implicit-def: $vgpr18
                                        ; implicit-def: $vgpr51
                                        ; implicit-def: $vgpr33
                                        ; implicit-def: $vgpr50
                                        ; implicit-def: $vgpr22
                                        ; implicit-def: $vgpr53
                                        ; implicit-def: $vgpr34
                                        ; implicit-def: $vgpr52
                                        ; implicit-def: $vgpr23
                                        ; implicit-def: $vgpr54
                                        ; implicit-def: $vgpr35
                                        ; implicit-def: $vgpr25
                                        ; implicit-def: $vgpr36
	s_load_b64 s[2:3], s[2:3], 0x0
	s_load_b64 s[0:1], s[0:1], 0x20
	s_waitcnt lgkmcnt(0)
	v_mul_lo_u32 v6, s2, v8
	v_mul_lo_u32 v9, s3, v7
	v_mad_u64_u32 v[1:2], null, s2, v7, v[3:4]
	v_mul_u32_u24_e32 v3, 44, v5
	v_cmp_gt_u64_e32 vcc_lo, s[0:1], v[7:8]
	v_mov_b32_e32 v7, 0
                                        ; implicit-def: $vgpr8
	s_delay_alu instid0(VALU_DEP_3) | instskip(SKIP_1) | instid1(VALU_DEP_1)
	v_sub_nc_u32_e32 v0, v0, v3
	v_add3_u32 v2, v9, v2, v6
                                        ; implicit-def: $vgpr6
                                        ; implicit-def: $vgpr9
	v_lshlrev_b64 v[2:3], 2, v[1:2]
	v_mov_b32_e32 v1, 0
	s_and_saveexec_b32 s1, vcc_lo
	s_cbranch_execz .LBB0_13
; %bb.10:
	v_mov_b32_e32 v1, 0
	s_delay_alu instid0(VALU_DEP_3) | instskip(NEXT) | instid1(VALU_DEP_1)
	v_add_co_u32 v6, s0, s8, v2
	v_add_co_ci_u32_e64 v7, s0, s9, v3, s0
	s_delay_alu instid0(VALU_DEP_3) | instskip(SKIP_1) | instid1(VALU_DEP_1)
	v_lshlrev_b64 v[4:5], 2, v[0:1]
	s_mov_b32 s2, exec_lo
                                        ; implicit-def: $vgpr36
                                        ; implicit-def: $vgpr25
	v_add_co_u32 v4, s0, v6, v4
	s_delay_alu instid0(VALU_DEP_1)
	v_add_co_ci_u32_e64 v5, s0, v7, v5, s0
	v_mov_b32_e32 v7, v1
	s_clause 0x13
	global_load_b32 v9, v[4:5], off offset:2024
	global_load_b32 v11, v[4:5], off offset:2200
	;; [unrolled: 1-line block ×5, first 2 shown]
	global_load_b32 v6, v[4:5], off
	global_load_b32 v8, v[4:5], off offset:176
	global_load_b32 v10, v[4:5], off offset:352
	;; [unrolled: 1-line block ×14, first 2 shown]
	v_cmpx_gt_u32_e32 22, v0
	s_cbranch_execz .LBB0_12
; %bb.11:
	s_clause 0x1
	global_load_b32 v1, v[4:5], off offset:1760
	global_load_b32 v36, v[4:5], off offset:3608
	s_waitcnt vmcnt(1)
	v_lshrrev_b32_e32 v7, 16, v1
	s_waitcnt vmcnt(0)
	v_lshrrev_b32_e32 v25, 16, v36
.LBB0_12:
	s_or_b32 exec_lo, exec_lo, s2
	s_waitcnt vmcnt(14)
	v_lshrrev_b32_e32 v21, 16, v6
	s_waitcnt vmcnt(5)
	v_lshrrev_b32_e32 v27, 16, v20
	v_lshrrev_b32_e32 v24, 16, v8
	;; [unrolled: 1-line block ×12, first 2 shown]
	s_waitcnt vmcnt(3)
	v_lshrrev_b32_e32 v49, 16, v32
	v_lshrrev_b32_e32 v46, 16, v18
	s_waitcnt vmcnt(2)
	v_lshrrev_b32_e32 v51, 16, v33
	v_lshrrev_b32_e32 v50, 16, v22
	;; [unrolled: 3-line block ×3, first 2 shown]
	s_waitcnt vmcnt(0)
	v_lshrrev_b32_e32 v54, 16, v35
.LBB0_13:
	s_or_b32 exec_lo, exec_lo, s1
	v_sub_f16_e32 v20, v6, v20
	v_sub_f16_e32 v11, v10, v11
	;; [unrolled: 1-line block ×5, first 2 shown]
	v_fma_f16 v13, v6, 2.0, -v20
	v_fma_f16 v10, v10, 2.0, -v11
	v_sub_f16_e32 v16, v14, v16
	v_sub_f16_e32 v19, v17, v19
	v_fma_f16 v39, v12, 2.0, -v38
	v_sub_f16_e32 v32, v15, v32
	v_sub_f16_e32 v33, v18, v33
	;; [unrolled: 1-line block ×4, first 2 shown]
	v_add_nc_u32_e32 v6, 44, v0
	v_fma_f16 v5, v1, 2.0, -v4
	v_add_nc_u32_e32 v9, 0x58, v0
	v_pack_b32_f16 v1, v13, v20
	v_add_nc_u32_e32 v13, 0x84, v0
	v_add_nc_u32_e32 v12, 0xb0, v0
	v_pack_b32_f16 v20, v10, v11
	v_add_nc_u32_e32 v11, 0xdc, v0
	v_add_nc_u32_e32 v10, 0x108, v0
	;; [unrolled: 1-line block ×6, first 2 shown]
	v_fma_f16 v8, v8, 2.0, -v37
	v_fma_f16 v14, v14, 2.0, -v16
	;; [unrolled: 1-line block ×7, first 2 shown]
	v_lshl_add_u32 v55, v0, 2, 0
	v_lshl_add_u32 v56, v6, 2, 0
	v_lshl_add_u32 v60, v9, 2, 0
	v_lshl_add_u32 v61, v13, 2, 0
	v_lshl_add_u32 v62, v12, 2, 0
	v_lshl_add_u32 v63, v11, 2, 0
	v_lshl_add_u32 v64, v10, 2, 0
	v_lshl_add_u32 v65, v57, 2, 0
	v_lshl_add_u32 v66, v58, 2, 0
	v_lshl_add_u32 v68, v59, 2, 0
	v_cmp_gt_u32_e64 s0, 22, v0
	v_lshl_add_u32 v67, v47, 2, 0
	v_pack_b32_f16 v8, v8, v37
	v_pack_b32_f16 v36, v39, v38
	;; [unrolled: 1-line block ×8, first 2 shown]
	ds_store_b32 v55, v1
	ds_store_b32 v56, v8
	ds_store_b32 v60, v20
	ds_store_b32 v61, v36
	ds_store_b32 v62, v14
	ds_store_b32 v63, v16
	ds_store_b32 v64, v15
	ds_store_b32 v65, v17
	ds_store_b32 v66, v18
	ds_store_b32 v68, v19
	s_and_saveexec_b32 s1, s0
	s_cbranch_execz .LBB0_15
; %bb.14:
	v_perm_b32 v1, v4, v5, 0x5040100
	ds_store_b32 v67, v1
.LBB0_15:
	s_or_b32 exec_lo, exec_lo, s1
	v_lshl_add_u32 v1, v0, 1, 0
	s_waitcnt lgkmcnt(0)
	s_barrier
	buffer_gl0_inv
	ds_load_u16 v19, v1 offset:1012
	ds_load_u16 v17, v1 offset:1100
	;; [unrolled: 1-line block ×5, first 2 shown]
	ds_load_u16 v32, v1
	ds_load_u16 v33, v1 offset:88
	ds_load_u16 v34, v1 offset:176
	ds_load_u16 v35, v1 offset:264
	ds_load_u16 v36, v1 offset:352
	ds_load_u16 v37, v1 offset:440
	ds_load_u16 v38, v1 offset:528
	ds_load_u16 v39, v1 offset:616
	ds_load_u16 v40, v1 offset:704
	ds_load_u16 v23, v1 offset:924
	ds_load_u16 v43, v1 offset:792
	ds_load_u16 v22, v1 offset:1452
	ds_load_u16 v20, v1 offset:1540
	ds_load_u16 v18, v1 offset:1628
	ds_load_u16 v15, v1 offset:1716
	s_and_saveexec_b32 s1, s0
	s_cbranch_execz .LBB0_17
; %bb.16:
	ds_load_u16 v5, v1 offset:880
	ds_load_u16 v4, v1 offset:1804
.LBB0_17:
	s_or_b32 exec_lo, exec_lo, s1
	v_sub_f16_e32 v27, v21, v27
	v_sub_f16_e32 v28, v24, v28
	;; [unrolled: 1-line block ×5, first 2 shown]
	v_fma_f16 v69, v21, 2.0, -v27
	v_sub_f16_e32 v48, v44, v48
	v_fma_f16 v70, v24, 2.0, -v28
	v_sub_f16_e32 v49, v42, v49
	v_sub_f16_e32 v51, v46, v51
	;; [unrolled: 1-line block ×5, first 2 shown]
	v_fma_f16 v26, v26, 2.0, -v30
	v_fma_f16 v29, v29, 2.0, -v41
	;; [unrolled: 1-line block ×9, first 2 shown]
	v_pack_b32_f16 v7, v69, v27
	v_pack_b32_f16 v27, v70, v28
	;; [unrolled: 1-line block ×5, first 2 shown]
	s_waitcnt lgkmcnt(0)
	s_barrier
	buffer_gl0_inv
	v_pack_b32_f16 v30, v44, v48
	v_pack_b32_f16 v25, v25, v49
	;; [unrolled: 1-line block ×5, first 2 shown]
	ds_store_b32 v55, v7
	ds_store_b32 v56, v27
	;; [unrolled: 1-line block ×10, first 2 shown]
	s_and_saveexec_b32 s1, s0
	s_cbranch_execz .LBB0_19
; %bb.18:
	v_perm_b32 v7, v24, v21, 0x5040100
	ds_store_b32 v67, v7
.LBB0_19:
	s_or_b32 exec_lo, exec_lo, s1
	s_waitcnt lgkmcnt(0)
	s_barrier
	buffer_gl0_inv
	ds_load_u16 v46, v1 offset:1012
	ds_load_u16 v48, v1 offset:1100
	;; [unrolled: 1-line block ×5, first 2 shown]
	ds_load_u16 v31, v1
	ds_load_u16 v41, v1 offset:88
	ds_load_u16 v42, v1 offset:176
	;; [unrolled: 1-line block ×14, first 2 shown]
	v_lshlrev_b32_e32 v7, 1, v0
	v_lshlrev_b32_e32 v60, 1, v6
	;; [unrolled: 1-line block ×10, first 2 shown]
	s_and_saveexec_b32 s1, s0
	s_cbranch_execz .LBB0_21
; %bb.20:
	ds_load_u16 v21, v1 offset:880
	ds_load_u16 v24, v1 offset:1804
.LBB0_21:
	s_or_b32 exec_lo, exec_lo, s1
	v_and_b32_e32 v25, 1, v0
	v_lshlrev_b32_e32 v47, 1, v47
	s_delay_alu instid0(VALU_DEP_2)
	v_lshlrev_b32_e32 v57, 2, v25
	v_and_or_b32 v61, 0x1fc, v61, v25
	v_and_or_b32 v68, 0x3fc, v64, v25
	;; [unrolled: 1-line block ×4, first 2 shown]
	global_load_b32 v57, v57, s[4:5]
	v_lshl_add_u32 v65, v61, 1, 0
	v_lshl_add_u32 v61, v68, 1, 0
	v_and_or_b32 v62, 0x1fc, v62, v25
	v_and_or_b32 v60, 0xfc, v60, v25
	;; [unrolled: 1-line block ×5, first 2 shown]
	v_lshl_add_u32 v67, v7, 1, 0
	v_lshl_add_u32 v64, v62, 1, 0
	;; [unrolled: 1-line block ×7, first 2 shown]
	v_and_or_b32 v63, 0x1fc, v63, v25
	s_waitcnt vmcnt(0) lgkmcnt(0)
	s_barrier
	buffer_gl0_inv
	v_lshl_add_u32 v63, v63, 1, 0
	v_lshrrev_b32_e32 v68, 16, v57
	s_delay_alu instid0(VALU_DEP_1)
	v_mul_f16_e32 v7, v56, v68
	v_mul_f16_e32 v69, v46, v68
	;; [unrolled: 1-line block ×11, first 2 shown]
	v_fma_f16 v7, v23, v57, -v7
	v_fma_f16 v69, v19, v57, -v69
	;; [unrolled: 1-line block ×11, first 2 shown]
	v_sub_f16_e32 v79, v32, v7
	v_sub_f16_e32 v69, v33, v69
	;; [unrolled: 1-line block ×11, first 2 shown]
	v_fma_f16 v32, v32, 2.0, -v79
	v_fma_f16 v33, v33, 2.0, -v69
	;; [unrolled: 1-line block ×10, first 2 shown]
	ds_store_b16 v67, v32
	ds_store_b16 v67, v79 offset:4
	ds_store_b16 v66, v33
	ds_store_b16 v66, v69 offset:4
	;; [unrolled: 2-line block ×10, first 2 shown]
	s_and_saveexec_b32 s1, s0
	s_cbranch_execz .LBB0_23
; %bb.22:
	v_and_or_b32 v32, 0x3fc, v47, v25
	v_fma_f16 v5, v5, 2.0, -v7
	s_delay_alu instid0(VALU_DEP_2)
	v_lshl_add_u32 v32, v32, 1, 0
	ds_store_b16 v32, v5
	ds_store_b16 v32, v7 offset:4
.LBB0_23:
	s_or_b32 exec_lo, exec_lo, s1
	v_mul_f16_e32 v5, v23, v68
	v_mul_f16_e32 v19, v19, v68
	;; [unrolled: 1-line block ×8, first 2 shown]
	v_fmac_f16_e32 v5, v56, v57
	v_mul_f16_e32 v8, v8, v68
	v_fmac_f16_e32 v19, v46, v57
	v_mul_f16_e32 v22, v22, v68
	v_fmac_f16_e32 v20, v53, v57
	v_fmac_f16_e32 v18, v54, v57
	;; [unrolled: 1-line block ×7, first 2 shown]
	v_mul_f16_e32 v4, v4, v68
	v_fmac_f16_e32 v22, v52, v57
	v_sub_f16_e32 v5, v31, v5
	v_sub_f16_e32 v23, v41, v19
	;; [unrolled: 1-line block ×5, first 2 shown]
	v_fmac_f16_e32 v4, v24, v57
	v_sub_f16_e32 v24, v42, v17
	v_sub_f16_e32 v43, v44, v16
	;; [unrolled: 1-line block ×3, first 2 shown]
	v_fma_f16 v48, v31, 2.0, -v5
	v_fma_f16 v49, v41, 2.0, -v23
	;; [unrolled: 1-line block ×5, first 2 shown]
	s_waitcnt lgkmcnt(0)
	s_barrier
	buffer_gl0_inv
	ds_load_u16 v28, v1 offset:1320
	ds_load_u16 v19, v1
	ds_load_u16 v18, v1 offset:88
	ds_load_u16 v14, v1 offset:176
	;; [unrolled: 1-line block ×19, first 2 shown]
	v_sub_f16_e32 v50, v26, v8
	v_sub_f16_e32 v22, v27, v22
	;; [unrolled: 1-line block ×3, first 2 shown]
	v_fma_f16 v42, v42, 2.0, -v24
	v_fma_f16 v44, v44, 2.0, -v43
	;; [unrolled: 1-line block ×5, first 2 shown]
	s_waitcnt lgkmcnt(0)
	s_barrier
	buffer_gl0_inv
	ds_store_b16 v67, v48
	ds_store_b16 v67, v5 offset:4
	ds_store_b16 v66, v49
	ds_store_b16 v66, v23 offset:4
	;; [unrolled: 2-line block ×10, first 2 shown]
	s_and_saveexec_b32 s1, s0
	s_cbranch_execz .LBB0_25
; %bb.24:
	v_and_or_b32 v4, 0x3fc, v47, v25
	v_fma_f16 v5, v21, 2.0, -v8
	s_delay_alu instid0(VALU_DEP_2)
	v_lshl_add_u32 v4, v4, 1, 0
	ds_store_b16 v4, v5
	ds_store_b16 v4, v8 offset:4
.LBB0_25:
	s_or_b32 exec_lo, exec_lo, s1
	v_and_b32_e32 v47, 3, v0
	s_waitcnt lgkmcnt(0)
	s_barrier
	buffer_gl0_inv
	v_lshrrev_b32_e32 v57, 2, v0
	v_lshlrev_b32_e32 v4, 3, v47
	v_lshrrev_b32_e32 v58, 2, v6
	v_lshrrev_b32_e32 v59, 2, v9
	;; [unrolled: 1-line block ×4, first 2 shown]
	global_load_b64 v[4:5], v4, s[4:5] offset:8
	v_lshrrev_b32_e32 v11, 2, v11
	v_lshrrev_b32_e32 v10, 2, v10
	v_and_b32_e32 v61, 0xff, v6
	v_and_b32_e32 v62, 0xff, v9
	v_mul_u32_u24_e32 v57, 12, v57
	v_mul_u32_u24_e32 v58, 12, v58
	;; [unrolled: 1-line block ×7, first 2 shown]
	v_mul_lo_u16 v61, 0xab, v61
	v_mul_lo_u16 v62, 0xab, v62
	v_or_b32_e32 v57, v57, v47
	v_or_b32_e32 v58, v58, v47
	;; [unrolled: 1-line block ×7, first 2 shown]
	v_lshrrev_b16 v47, 11, v61
	v_lshrrev_b16 v61, 11, v62
	ds_load_u16 v27, v1
	ds_load_u16 v26, v1 offset:88
	ds_load_u16 v25, v1 offset:176
	;; [unrolled: 1-line block ×20, first 2 shown]
	v_and_b32_e32 v60, 0xff, v0
	v_lshl_add_u32 v57, v57, 1, 0
	v_mul_lo_u16 v63, v47, 12
	v_mul_lo_u16 v64, v61, 12
	v_lshl_add_u32 v58, v58, 1, 0
	v_mul_lo_u16 v60, 0xab, v60
	s_waitcnt vmcnt(0) lgkmcnt(0)
	v_sub_nc_u16 v63, v6, v63
	v_sub_nc_u16 v9, v9, v64
	s_barrier
	v_lshrrev_b16 v60, 11, v60
	buffer_gl0_inv
	v_and_b32_e32 v63, 0xff, v63
	v_and_b32_e32 v66, 0xff, v9
	v_lshl_add_u32 v59, v59, 1, 0
	v_mul_lo_u16 v62, v60, 12
	v_lshl_add_u32 v13, v13, 1, 0
	v_mul_u32_u24_e32 v67, 6, v63
	v_lshl_add_u32 v12, v12, 1, 0
	v_lshl_add_u32 v11, v11, 1, 0
	v_sub_nc_u16 v62, v0, v62
	v_lshl_add_u32 v10, v10, 1, 0
	v_cmp_gt_u32_e64 s0, 40, v0
	s_delay_alu instid0(VALU_DEP_3) | instskip(NEXT) | instid1(VALU_DEP_1)
	v_and_b32_e32 v62, 0xff, v62
	v_mul_u32_u24_e32 v64, 6, v62
	s_delay_alu instid0(VALU_DEP_1) | instskip(SKIP_2) | instid1(VALU_DEP_2)
	v_lshlrev_b32_e32 v64, 2, v64
	v_lshrrev_b32_e32 v65, 16, v4
	v_lshrrev_b32_e32 v9, 16, v5
	v_mul_f16_e32 v68, v50, v65
	s_delay_alu instid0(VALU_DEP_2)
	v_mul_f16_e32 v70, v52, v9
	v_mul_f16_e32 v69, v40, v65
	;; [unrolled: 1-line block ×26, first 2 shown]
	v_fma_f16 v40, v40, v4, -v68
	v_fma_f16 v41, v41, v5, -v70
	v_fmac_f16_e32 v69, v50, v4
	v_fmac_f16_e32 v71, v52, v5
	v_fma_f16 v37, v37, v4, -v72
	v_fma_f16 v28, v28, v5, -v74
	v_mul_f16_e32 v9, v32, v9
	v_fmac_f16_e32 v73, v48, v4
	v_fmac_f16_e32 v75, v51, v5
	v_fma_f16 v35, v35, v4, -v76
	v_fmac_f16_e32 v77, v49, v4
	v_fma_f16 v39, v39, v5, -v78
	;; [unrolled: 2-line block ×10, first 2 shown]
	v_add_f16_e32 v32, v40, v41
	v_add_f16_e32 v44, v69, v71
	;; [unrolled: 1-line block ×3, first 2 shown]
	v_fmac_f16_e32 v9, v45, v5
	v_add_f16_e32 v5, v19, v40
	v_sub_f16_e32 v42, v69, v71
	v_add_f16_e32 v43, v27, v69
	v_add_f16_e32 v50, v73, v75
	v_add_f16_e32 v52, v35, v39
	v_sub_f16_e32 v53, v77, v79
	v_add_f16_e32 v54, v25, v77
	v_add_f16_e32 v55, v77, v79
	;; [unrolled: 4-line block ×4, first 2 shown]
	v_add_f16_e32 v81, v29, v34
	v_add_f16_e32 v85, v89, v91
	;; [unrolled: 1-line block ×4, first 2 shown]
	v_fmac_f16_e32 v19, -0.5, v32
	v_add_f16_e32 v45, v18, v37
	v_sub_f16_e32 v40, v40, v41
	v_sub_f16_e32 v48, v73, v75
	v_fmac_f16_e32 v27, -0.5, v44
	v_fmac_f16_e32 v18, -0.5, v46
	v_sub_f16_e32 v37, v37, v28
	v_add_f16_e32 v51, v14, v35
	v_sub_f16_e32 v35, v35, v39
	v_add_f16_e32 v56, v15, v33
	;; [unrolled: 2-line block ×7, first 2 shown]
	v_add_f16_e32 v65, v65, v9
	v_add_f16_e32 v5, v5, v41
	v_fmac_f16_e32 v26, -0.5, v50
	v_fmac_f16_e32 v14, -0.5, v52
	;; [unrolled: 1-line block ×10, first 2 shown]
	v_add_f16_e32 v41, v49, v75
	v_fmamk_f16 v49, v42, 0x3aee, v19
	v_fmac_f16_e32 v19, 0xbaee, v42
	v_add_f16_e32 v28, v45, v28
	v_fmamk_f16 v42, v40, 0xbaee, v27
	v_fmac_f16_e32 v27, 0x3aee, v40
	v_fmamk_f16 v40, v48, 0x3aee, v18
	v_fmac_f16_e32 v18, 0xbaee, v48
	v_sub_f16_e32 v30, v30, v4
	v_add_f16_e32 v32, v43, v71
	v_add_f16_e32 v39, v51, v39
	v_add_f16_e32 v38, v56, v38
	v_add_f16_e32 v36, v73, v36
	v_add_f16_e32 v34, v80, v34
	v_add_f16_e32 v4, v86, v4
	v_fmac_f16_e32 v24, -0.5, v65
	v_fmamk_f16 v48, v37, 0xbaee, v26
	v_fmac_f16_e32 v26, 0x3aee, v37
	v_fmamk_f16 v37, v53, 0x3aee, v14
	v_fmac_f16_e32 v14, 0xbaee, v53
	;; [unrolled: 2-line block ×10, first 2 shown]
	ds_store_b16 v57, v5
	ds_store_b16 v57, v49 offset:8
	ds_store_b16 v57, v19 offset:16
	ds_store_b16 v58, v28
	ds_store_b16 v58, v40 offset:8
	ds_store_b16 v58, v18 offset:16
	;; [unrolled: 3-line block ×7, first 2 shown]
	v_mul_u32_u24_e32 v18, 6, v66
	v_lshlrev_b32_e32 v5, 2, v67
	v_add_f16_e32 v9, v90, v9
	v_add_f16_e32 v43, v54, v79
	;; [unrolled: 1-line block ×5, first 2 shown]
	v_fmamk_f16 v54, v30, 0xbaee, v24
	v_fmac_f16_e32 v24, 0x3aee, v30
	s_waitcnt lgkmcnt(0)
	s_barrier
	buffer_gl0_inv
	ds_load_u16 v4, v1
	ds_load_u16 v17, v1 offset:88
	ds_load_u16 v70, v1 offset:1408
	;; [unrolled: 1-line block ×20, first 2 shown]
	s_waitcnt lgkmcnt(0)
	s_barrier
	buffer_gl0_inv
	ds_store_b16 v57, v32
	ds_store_b16 v57, v42 offset:8
	ds_store_b16 v57, v27 offset:16
	ds_store_b16 v58, v41
	ds_store_b16 v58, v48 offset:8
	ds_store_b16 v58, v26 offset:16
	;; [unrolled: 3-line block ×7, first 2 shown]
	s_waitcnt lgkmcnt(0)
	s_barrier
	buffer_gl0_inv
	global_load_b128 v[9:12], v64, s[4:5] offset:40
	v_lshlrev_b32_e32 v18, 2, v18
	s_clause 0x4
	global_load_b64 v[33:34], v64, s[4:5] offset:56
	global_load_b128 v[13:16], v5, s[4:5] offset:40
	global_load_b64 v[35:36], v5, s[4:5] offset:56
	global_load_b128 v[29:32], v18, s[4:5] offset:40
	global_load_b64 v[37:38], v18, s[4:5] offset:56
	v_and_b32_e32 v5, 0xffff, v60
	v_and_b32_e32 v18, 0xffff, v47
	v_lshlrev_b32_e32 v20, 1, v62
	v_lshlrev_b32_e32 v21, 1, v63
	v_and_b32_e32 v19, 0xffff, v61
	v_mul_u32_u24_e32 v5, 0xa8, v5
	v_mul_u32_u24_e32 v18, 0xa8, v18
	v_lshlrev_b32_e32 v22, 1, v66
	s_delay_alu instid0(VALU_DEP_4) | instskip(NEXT) | instid1(VALU_DEP_4)
	v_mul_u32_u24_e32 v19, 0xa8, v19
	v_add3_u32 v40, 0, v5, v20
	s_delay_alu instid0(VALU_DEP_4)
	v_add3_u32 v39, 0, v18, v21
	ds_load_u16 v20, v1
	ds_load_u16 v5, v1 offset:88
	ds_load_u16 v27, v1 offset:1408
	;; [unrolled: 1-line block ×20, first 2 shown]
	s_waitcnt vmcnt(0) lgkmcnt(0)
	v_add3_u32 v28, 0, v19, v22
	s_barrier
	buffer_gl0_inv
	v_lshrrev_b32_e32 v19, 16, v9
	v_lshrrev_b32_e32 v21, 16, v10
	;; [unrolled: 1-line block ×17, first 2 shown]
	v_mul_f16_e32 v94, v48, v19
	v_mul_f16_e32 v95, v44, v21
	;; [unrolled: 1-line block ×4, first 2 shown]
	v_lshrrev_b32_e32 v67, 16, v31
	v_mul_f16_e32 v53, v65, v19
	v_mul_f16_e32 v54, v68, v21
	;; [unrolled: 1-line block ×28, first 2 shown]
	v_fma_f16 v65, v65, v9, -v94
	v_fma_f16 v64, v68, v10, -v95
	;; [unrolled: 1-line block ×4, first 2 shown]
	v_mul_f16_e32 v21, v80, v66
	v_mul_f16_e32 v108, v86, v67
	;; [unrolled: 1-line block ×4, first 2 shown]
	v_fmac_f16_e32 v53, v48, v9
	v_fmac_f16_e32 v54, v44, v10
	v_fma_f16 v66, v79, v11, -v96
	v_fmac_f16_e32 v52, v58, v11
	v_fma_f16 v67, v76, v12, -v97
	v_fmac_f16_e32 v55, v57, v12
	v_fmac_f16_e32 v60, v50, v33
	v_fmac_f16_e32 v62, v63, v34
	v_fma_f16 v57, v72, v13, -v100
	v_fmac_f16_e32 v26, v46, v13
	v_fma_f16 v56, v56, v14, -v101
	v_fmac_f16_e32 v42, v41, v14
	;; [unrolled: 6-line block ×3, first 2 shown]
	v_fma_f16 v44, v71, v29, -v106
	v_fma_f16 v41, v80, v30, -v107
	;; [unrolled: 1-line block ×4, first 2 shown]
	v_add_f16_e32 v9, v65, v69
	v_add_f16_e32 v11, v64, v68
	v_fma_f16 v58, v78, v15, -v102
	v_fma_f16 v59, v75, v16, -v103
	v_fmac_f16_e32 v19, v45, v29
	v_fmac_f16_e32 v21, v87, v30
	v_fma_f16 v45, v77, v31, -v108
	v_fmac_f16_e32 v22, v86, v31
	v_fma_f16 v46, v74, v32, -v109
	v_fmac_f16_e32 v23, v85, v32
	v_fmac_f16_e32 v24, v90, v37
	;; [unrolled: 1-line block ×3, first 2 shown]
	v_sub_f16_e32 v10, v53, v62
	v_sub_f16_e32 v12, v54, v60
	v_add_f16_e32 v13, v66, v67
	v_sub_f16_e32 v14, v55, v52
	v_add_f16_e32 v15, v57, v63
	;; [unrolled: 2-line block ×3, first 2 shown]
	v_sub_f16_e32 v29, v42, v49
	v_sub_f16_e32 v31, v47, v43
	v_add_f16_e32 v32, v44, v50
	v_add_f16_e32 v34, v41, v48
	;; [unrolled: 1-line block ×4, first 2 shown]
	v_sub_f16_e32 v33, v19, v25
	v_sub_f16_e32 v35, v21, v24
	v_add_f16_e32 v36, v45, v46
	v_sub_f16_e32 v37, v23, v22
	v_sub_f16_e32 v70, v11, v9
	;; [unrolled: 1-line block ×4, first 2 shown]
	v_add_f16_e32 v71, v14, v12
	v_sub_f16_e32 v72, v14, v12
	v_sub_f16_e32 v12, v12, v10
	v_add_f16_e32 v74, v27, v15
	v_add_f16_e32 v76, v31, v29
	v_sub_f16_e32 v77, v31, v29
	v_sub_f16_e32 v29, v29, v16
	v_add_f16_e32 v78, v34, v32
	v_add_f16_e32 v13, v13, v38
	v_sub_f16_e32 v14, v10, v14
	v_sub_f16_e32 v75, v27, v15
	;; [unrolled: 1-line block ×8, first 2 shown]
	v_add_f16_e32 v80, v37, v35
	v_sub_f16_e32 v81, v37, v35
	v_sub_f16_e32 v35, v35, v33
	v_add_f16_e32 v10, v71, v10
	v_mul_f16_e32 v9, 0x3a52, v9
	v_mul_f16_e32 v38, 0x2b26, v11
	;; [unrolled: 1-line block ×4, first 2 shown]
	v_add_f16_e32 v30, v30, v74
	v_add_f16_e32 v16, v76, v16
	v_mul_f16_e32 v76, 0xb846, v77
	v_mul_f16_e32 v77, 0x3b00, v29
	v_add_f16_e32 v36, v36, v78
	v_add_f16_e32 v82, v4, v13
	v_sub_f16_e32 v37, v33, v37
	v_mul_f16_e32 v15, 0x3a52, v15
	v_mul_f16_e32 v74, 0x2b26, v27
	v_add_f16_e32 v33, v80, v33
	v_mul_f16_e32 v32, 0x3a52, v32
	v_mul_f16_e32 v78, 0x2b26, v34
	;; [unrolled: 1-line block ×4, first 2 shown]
	v_fmamk_f16 v4, v11, 0x2b26, v9
	v_fma_f16 v11, v70, 0x39e0, -v38
	v_fma_f16 v38, v70, 0xb9e0, -v9
	v_fmamk_f16 v70, v14, 0x3574, v71
	v_fma_f16 v12, v12, 0x3b00, -v71
	v_fma_f16 v14, v14, 0xb574, -v72
	v_add_f16_e32 v71, v17, v30
	v_fmamk_f16 v72, v31, 0x3574, v76
	v_fma_f16 v29, v29, 0x3b00, -v76
	v_fma_f16 v31, v31, 0xb574, -v77
	v_add_f16_e32 v9, v73, v36
	v_fmamk_f16 v13, v13, 0xbcab, v82
	v_fmamk_f16 v17, v27, 0x2b26, v15
	v_fma_f16 v27, v75, 0x39e0, -v74
	v_fma_f16 v15, v75, 0xb9e0, -v15
	v_fmamk_f16 v34, v34, 0x2b26, v32
	v_fma_f16 v73, v79, 0x39e0, -v78
	v_fma_f16 v32, v79, 0xb9e0, -v32
	;; [unrolled: 3-line block ×3, first 2 shown]
	v_fmac_f16_e32 v70, 0x370e, v10
	v_fmac_f16_e32 v12, 0x370e, v10
	;; [unrolled: 1-line block ×3, first 2 shown]
	v_fmamk_f16 v10, v30, 0xbcab, v71
	v_fmac_f16_e32 v72, 0x370e, v16
	v_fmac_f16_e32 v29, 0x370e, v16
	;; [unrolled: 1-line block ×3, first 2 shown]
	v_fmamk_f16 v16, v36, 0xbcab, v9
	v_add_f16_e32 v4, v4, v13
	v_add_f16_e32 v11, v11, v13
	;; [unrolled: 1-line block ×3, first 2 shown]
	v_fmac_f16_e32 v74, 0x370e, v33
	v_fmac_f16_e32 v35, 0x370e, v33
	;; [unrolled: 1-line block ×3, first 2 shown]
	v_add_f16_e32 v17, v17, v10
	v_add_f16_e32 v27, v27, v10
	;; [unrolled: 1-line block ×8, first 2 shown]
	v_sub_f16_e32 v36, v11, v12
	v_add_f16_e32 v38, v12, v11
	v_sub_f16_e32 v73, v13, v14
	v_sub_f16_e32 v70, v4, v70
	v_add_f16_e32 v75, v72, v17
	v_add_f16_e32 v76, v31, v10
	v_sub_f16_e32 v77, v27, v29
	v_add_f16_e32 v4, v29, v27
	v_sub_f16_e32 v16, v10, v31
	v_sub_f16_e32 v17, v17, v72
	v_add_f16_e32 v10, v74, v15
	v_add_f16_e32 v11, v37, v32
	v_sub_f16_e32 v12, v30, v35
	v_add_f16_e32 v13, v35, v30
	v_sub_f16_e32 v14, v32, v37
	v_sub_f16_e32 v15, v15, v74
	ds_store_b16 v40, v82
	ds_store_b16 v40, v33 offset:24
	ds_store_b16 v40, v34 offset:48
	ds_store_b16 v40, v36 offset:72
	ds_store_b16 v40, v38 offset:96
	ds_store_b16 v40, v73 offset:120
	ds_store_b16 v40, v70 offset:144
	ds_store_b16 v39, v71
	ds_store_b16 v39, v75 offset:24
	ds_store_b16 v39, v76 offset:48
	ds_store_b16 v39, v77 offset:72
	ds_store_b16 v39, v4 offset:96
	ds_store_b16 v39, v16 offset:120
	ds_store_b16 v39, v17 offset:144
	;; [unrolled: 7-line block ×3, first 2 shown]
	s_waitcnt lgkmcnt(0)
	s_barrier
	buffer_gl0_inv
	ds_load_u16 v27, v1
	ds_load_u16 v35, v1 offset:168
	ds_load_u16 v34, v1 offset:336
	;; [unrolled: 1-line block ×10, first 2 shown]
	s_and_saveexec_b32 s1, s0
	s_cbranch_execz .LBB0_27
; %bb.26:
	ds_load_u16 v4, v1 offset:88
	ds_load_u16 v16, v1 offset:256
	;; [unrolled: 1-line block ×11, first 2 shown]
.LBB0_27:
	s_or_b32 exec_lo, exec_lo, s1
	v_add_f16_e32 v53, v53, v62
	v_add_f16_e32 v54, v54, v60
	;; [unrolled: 1-line block ×3, first 2 shown]
	v_sub_f16_e32 v55, v64, v68
	v_sub_f16_e32 v62, v67, v66
	;; [unrolled: 1-line block ×3, first 2 shown]
	v_add_f16_e32 v64, v54, v53
	v_sub_f16_e32 v65, v54, v53
	v_sub_f16_e32 v53, v53, v52
	;; [unrolled: 1-line block ×3, first 2 shown]
	v_add_f16_e32 v66, v62, v55
	v_add_f16_e32 v52, v52, v64
	v_sub_f16_e32 v64, v62, v55
	v_sub_f16_e32 v62, v60, v62
	;; [unrolled: 1-line block ×3, first 2 shown]
	v_add_f16_e32 v60, v66, v60
	v_add_f16_e32 v66, v20, v52
	v_mul_f16_e32 v20, 0x3a52, v53
	v_mul_f16_e32 v53, 0x2b26, v54
	v_mul_f16_e32 v64, 0xb846, v64
	v_mul_f16_e32 v67, 0x3b00, v55
	v_fmamk_f16 v52, v52, 0xbcab, v66
	v_add_f16_e32 v26, v26, v51
	v_fma_f16 v53, v65, 0x39e0, -v53
	v_fma_f16 v55, v55, 0x3b00, -v64
	v_add_f16_e32 v42, v42, v49
	v_fmamk_f16 v54, v54, 0x2b26, v20
	v_fma_f16 v20, v65, 0xb9e0, -v20
	v_add_f16_e32 v53, v53, v52
	v_fmac_f16_e32 v55, 0x370e, v60
	v_fmamk_f16 v65, v62, 0x3574, v64
	v_sub_f16_e32 v49, v57, v63
	v_add_f16_e32 v43, v43, v47
	v_sub_f16_e32 v47, v56, v61
	v_add_f16_e32 v64, v55, v53
	v_sub_f16_e32 v53, v53, v55
	v_sub_f16_e32 v51, v59, v58
	v_add_f16_e32 v55, v42, v26
	v_sub_f16_e32 v56, v42, v26
	v_sub_f16_e32 v26, v26, v43
	;; [unrolled: 1-line block ×3, first 2 shown]
	v_add_f16_e32 v57, v51, v47
	v_add_f16_e32 v43, v43, v55
	v_sub_f16_e32 v55, v51, v47
	v_sub_f16_e32 v47, v47, v49
	v_fma_f16 v62, v62, 0xb574, -v67
	v_sub_f16_e32 v51, v49, v51
	v_add_f16_e32 v49, v57, v49
	v_add_f16_e32 v57, v5, v43
	v_mul_f16_e32 v5, 0x3a52, v26
	v_mul_f16_e32 v26, 0x2b26, v42
	;; [unrolled: 1-line block ×4, first 2 shown]
	v_add_f16_e32 v20, v20, v52
	v_fmac_f16_e32 v62, 0x370e, v60
	v_fmamk_f16 v42, v42, 0x2b26, v5
	v_fma_f16 v26, v56, 0x39e0, -v26
	v_fma_f16 v5, v56, 0xb9e0, -v5
	v_fmamk_f16 v56, v51, 0x3574, v55
	v_fma_f16 v47, v47, 0x3b00, -v55
	v_fma_f16 v51, v51, 0xb574, -v58
	v_fmac_f16_e32 v65, 0x370e, v60
	v_sub_f16_e32 v60, v20, v62
	v_fmamk_f16 v43, v43, 0xbcab, v57
	v_fmac_f16_e32 v56, 0x370e, v49
	v_fmac_f16_e32 v51, 0x370e, v49
	;; [unrolled: 1-line block ×3, first 2 shown]
	v_add_f16_e32 v49, v62, v20
	v_add_f16_e32 v19, v19, v25
	;; [unrolled: 1-line block ×4, first 2 shown]
	v_sub_f16_e32 v21, v44, v50
	v_add_f16_e32 v22, v22, v23
	v_sub_f16_e32 v23, v41, v48
	v_sub_f16_e32 v24, v46, v45
	v_add_f16_e32 v25, v20, v19
	v_add_f16_e32 v42, v42, v43
	;; [unrolled: 1-line block ×4, first 2 shown]
	v_sub_f16_e32 v5, v26, v47
	v_sub_f16_e32 v26, v20, v19
	;; [unrolled: 1-line block ×4, first 2 shown]
	v_add_f16_e32 v41, v24, v23
	v_add_f16_e32 v22, v22, v25
	v_sub_f16_e32 v25, v24, v23
	v_sub_f16_e32 v23, v23, v21
	;; [unrolled: 1-line block ×3, first 2 shown]
	v_add_f16_e32 v21, v41, v21
	v_add_f16_e32 v18, v18, v22
	v_mul_f16_e32 v19, 0x3a52, v19
	v_mul_f16_e32 v41, 0x2b26, v20
	;; [unrolled: 1-line block ×4, first 2 shown]
	v_fmamk_f16 v22, v22, 0xbcab, v18
	v_fmamk_f16 v20, v20, 0x2b26, v19
	v_fma_f16 v41, v26, 0x39e0, -v41
	v_fma_f16 v19, v26, 0xb9e0, -v19
	v_fmamk_f16 v45, v24, 0x3574, v25
	v_fma_f16 v23, v23, 0x3b00, -v25
	v_fma_f16 v24, v24, 0xb574, -v44
	v_add_f16_e32 v54, v54, v52
	v_add_f16_e32 v44, v20, v22
	;; [unrolled: 1-line block ×4, first 2 shown]
	v_fmac_f16_e32 v45, 0x370e, v21
	v_fmac_f16_e32 v24, 0x370e, v21
	;; [unrolled: 1-line block ×3, first 2 shown]
	v_sub_f16_e32 v52, v54, v65
	v_add_f16_e32 v54, v65, v54
	v_sub_f16_e32 v55, v42, v56
	v_sub_f16_e32 v58, v43, v51
	v_add_f16_e32 v25, v51, v43
	v_add_f16_e32 v26, v56, v42
	v_sub_f16_e32 v20, v44, v45
	v_sub_f16_e32 v21, v19, v24
	v_add_f16_e32 v22, v23, v41
	v_sub_f16_e32 v23, v41, v23
	v_add_f16_e32 v24, v24, v19
	v_add_f16_e32 v19, v45, v44
	s_waitcnt lgkmcnt(0)
	s_barrier
	buffer_gl0_inv
	ds_store_b16 v40, v66
	ds_store_b16 v40, v52 offset:24
	ds_store_b16 v40, v60 offset:48
	ds_store_b16 v40, v64 offset:72
	ds_store_b16 v40, v53 offset:96
	ds_store_b16 v40, v49 offset:120
	ds_store_b16 v40, v54 offset:144
	ds_store_b16 v39, v57
	ds_store_b16 v39, v55 offset:24
	ds_store_b16 v39, v58 offset:48
	ds_store_b16 v39, v59 offset:72
	ds_store_b16 v39, v5 offset:96
	ds_store_b16 v39, v25 offset:120
	ds_store_b16 v39, v26 offset:144
	;; [unrolled: 7-line block ×3, first 2 shown]
	s_waitcnt lgkmcnt(0)
	s_barrier
	buffer_gl0_inv
	ds_load_u16 v28, v1
	ds_load_u16 v47, v1 offset:168
	ds_load_u16 v45, v1 offset:336
	;; [unrolled: 1-line block ×10, first 2 shown]
	s_and_saveexec_b32 s1, s0
	s_cbranch_execz .LBB0_29
; %bb.28:
	ds_load_u16 v5, v1 offset:88
	ds_load_u16 v25, v1 offset:256
	ds_load_u16 v26, v1 offset:424
	ds_load_u16 v18, v1 offset:592
	ds_load_u16 v20, v1 offset:760
	ds_load_u16 v21, v1 offset:928
	ds_load_u16 v22, v1 offset:1096
	ds_load_u16 v23, v1 offset:1264
	ds_load_u16 v24, v1 offset:1432
	ds_load_u16 v19, v1 offset:1600
	ds_load_u16 v8, v1 offset:1768
.LBB0_29:
	s_or_b32 exec_lo, exec_lo, s1
	s_and_saveexec_b32 s1, vcc_lo
	s_cbranch_execz .LBB0_32
; %bb.30:
	v_mul_u32_u24_e32 v1, 10, v0
	v_add_co_u32 v2, vcc_lo, s8, v2
	v_add_co_ci_u32_e32 v3, vcc_lo, s9, v3, vcc_lo
	s_delay_alu instid0(VALU_DEP_3)
	v_lshlrev_b32_e32 v1, 2, v1
	s_clause 0x2
	global_load_b64 v[58:59], v1, s[4:5] offset:360
	global_load_b128 v[50:53], v1, s[4:5] offset:328
	global_load_b128 v[54:57], v1, s[4:5] offset:344
	v_mov_b32_e32 v1, 0
	s_delay_alu instid0(VALU_DEP_1) | instskip(NEXT) | instid1(VALU_DEP_1)
	v_lshlrev_b64 v[60:61], 2, v[0:1]
	v_add_co_u32 v2, vcc_lo, v2, v60
	s_delay_alu instid0(VALU_DEP_2)
	v_add_co_ci_u32_e32 v3, vcc_lo, v3, v61, vcc_lo
	s_waitcnt vmcnt(2)
	v_lshrrev_b32_e32 v61, 16, v59
	s_waitcnt vmcnt(1)
	v_lshrrev_b32_e32 v62, 16, v50
	v_lshrrev_b32_e32 v60, 16, v58
	s_waitcnt lgkmcnt(0)
	v_mul_f16_e32 v39, v49, v59
	v_lshrrev_b32_e32 v63, 16, v51
	v_mul_f16_e32 v66, v47, v50
	s_waitcnt vmcnt(0)
	v_lshrrev_b32_e32 v71, 16, v56
	v_mul_f16_e32 v47, v47, v62
	v_mul_f16_e32 v49, v49, v61
	v_lshrrev_b32_e32 v64, 16, v52
	v_lshrrev_b32_e32 v65, 16, v53
	v_mul_f16_e32 v67, v48, v58
	v_mul_f16_e32 v68, v45, v51
	v_lshrrev_b32_e32 v69, 16, v54
	v_lshrrev_b32_e32 v70, 16, v55
	;; [unrolled: 1-line block ×3, first 2 shown]
	v_mul_f16_e32 v73, v46, v57
	v_mul_f16_e32 v74, v44, v52
	;; [unrolled: 1-line block ×6, first 2 shown]
	v_fmac_f16_e32 v39, v38, v61
	v_fmac_f16_e32 v66, v35, v62
	v_mul_f16_e32 v45, v45, v63
	v_mul_f16_e32 v48, v48, v60
	;; [unrolled: 1-line block ×3, first 2 shown]
	v_fma_f16 v35, v35, v50, -v47
	v_fma_f16 v38, v38, v59, -v49
	v_fmac_f16_e32 v67, v37, v60
	v_fmac_f16_e32 v68, v34, v63
	;; [unrolled: 1-line block ×4, first 2 shown]
	v_mul_f16_e32 v44, v44, v64
	v_mul_f16_e32 v46, v46, v72
	v_fmac_f16_e32 v75, v33, v71
	v_fmac_f16_e32 v76, v31, v65
	v_mul_f16_e32 v42, v42, v65
	v_fmac_f16_e32 v77, v30, v70
	v_fmac_f16_e32 v78, v29, v69
	v_mul_f16_e32 v40, v40, v69
	v_mul_f16_e32 v41, v41, v70
	v_fma_f16 v34, v34, v51, -v45
	v_fma_f16 v37, v37, v58, -v48
	;; [unrolled: 1-line block ×3, first 2 shown]
	v_add_f16_e32 v43, v28, v66
	v_sub_f16_e32 v51, v35, v38
	v_add_f16_e32 v61, v38, v35
	v_add_f16_e32 v35, v27, v35
	;; [unrolled: 1-line block ×5, first 2 shown]
	v_fma_f16 v32, v32, v52, -v44
	v_fma_f16 v36, v36, v57, -v46
	v_add_f16_e32 v44, v75, v76
	v_fma_f16 v31, v31, v53, -v42
	v_add_f16_e32 v42, v77, v78
	v_fma_f16 v29, v29, v54, -v40
	v_fma_f16 v30, v30, v55, -v41
	v_sub_f16_e32 v40, v66, v39
	v_sub_f16_e32 v53, v34, v37
	v_add_f16_e32 v63, v37, v34
	v_add_f16_e32 v43, v43, v68
	;; [unrolled: 1-line block ×3, first 2 shown]
	v_sub_f16_e32 v41, v68, v67
	v_sub_f16_e32 v46, v74, v73
	;; [unrolled: 1-line block ×4, first 2 shown]
	v_mul_f16_e32 v50, 0x3abb, v60
	v_mul_f16_e32 v52, 0x36a6, v47
	;; [unrolled: 1-line block ×3, first 2 shown]
	v_sub_f16_e32 v55, v32, v36
	v_mul_f16_e32 v56, 0xb93d, v44
	v_sub_f16_e32 v57, v31, v33
	v_mul_f16_e32 v58, 0xbbad, v42
	v_sub_f16_e32 v59, v29, v30
	v_mul_f16_e32 v62, 0xb853, v40
	v_mul_f16_e32 v65, 0x36a6, v60
	v_mul_f16_e32 v66, 0xb93d, v47
	;; [unrolled: 1-line block ×24, first 2 shown]
	v_add_f16_e32 v97, v36, v32
	v_add_f16_e32 v35, v43, v74
	;; [unrolled: 1-line block ×3, first 2 shown]
	v_mul_f16_e32 v64, 0xbb47, v41
	v_mul_f16_e32 v79, 0xba0c, v41
	;; [unrolled: 1-line block ×15, first 2 shown]
	v_add_f16_e32 v102, v33, v31
	v_mul_f16_e32 v103, 0xb482, v49
	v_mul_f16_e32 v104, 0x3853, v49
	v_mul_f16_e32 v105, 0xba0c, v49
	v_mul_f16_e32 v106, 0x3b47, v49
	v_mul_f16_e32 v49, 0xbbeb, v49
	v_add_f16_e32 v107, v30, v29
	v_fmamk_f16 v108, v51, 0x3853, v50
	v_fmamk_f16 v109, v53, 0x3b47, v52
	;; [unrolled: 1-line block ×20, first 2 shown]
	v_fma_f16 v128, 0x3853, v55, v89
	v_fma_f16 v129, 0x3482, v57, v90
	;; [unrolled: 1-line block ×5, first 2 shown]
	v_fmac_f16_e32 v60, 0xb482, v51
	v_fmac_f16_e32 v87, 0xba0c, v51
	v_fmac_f16_e32 v80, 0xbbeb, v51
	v_fmac_f16_e32 v65, 0xbb47, v51
	v_fmac_f16_e32 v50, 0xb853, v51
	v_fmamk_f16 v51, v53, 0xb853, v47
	v_fmac_f16_e32 v47, 0x3853, v53
	v_fmac_f16_e32 v88, 0x3beb, v53
	v_fmac_f16_e32 v81, 0x3482, v53
	v_fmac_f16_e32 v66, 0xba0c, v53
	v_fmac_f16_e32 v52, 0xbb47, v53
	v_fmamk_f16 v53, v55, 0x3a0c, v45
	;; [unrolled: 6-line block ×5, first 2 shown]
	v_fma_f16 v40, v61, 0xbbad, -v40
	v_fma_f16 v92, v61, 0xb93d, -v92
	;; [unrolled: 1-line block ×5, first 2 shown]
	v_add_f16_e32 v34, v35, v76
	v_add_f16_e32 v31, v32, v31
	v_fmamk_f16 v62, v63, 0x3abb, v41
	v_fma_f16 v41, v63, 0x3abb, -v41
	v_fma_f16 v133, 0xb08e, v63, v93
	v_fma_f16 v93, v63, 0xb08e, -v93
	v_fma_f16 v134, 0xbbad, v63, v86
	v_fma_f16 v86, v63, 0xbbad, -v86
	v_fma_f16 v135, 0xb93d, v63, v79
	v_fma_f16 v79, v63, 0xb93d, -v79
	v_fma_f16 v136, 0x36a6, v63, v64
	v_fma_f16 v63, v63, 0x36a6, -v64
	v_fmamk_f16 v64, v97, 0xb93d, v46
	v_fma_f16 v46, v97, 0xb93d, -v46
	v_fma_f16 v137, 0x3abb, v97, v96
	v_fma_f16 v96, v97, 0x3abb, -v96
	v_fma_f16 v138, 0x36a6, v97, v95
	v_fma_f16 v95, v97, 0x36a6, -v95
	v_fma_f16 v139, 0xbbad, v97, v94
	v_fma_f16 v94, v97, 0xbbad, -v94
	v_fma_f16 v140, 0xb08e, v97, v68
	v_fma_f16 v68, v97, 0xb08e, -v68
	;; [unrolled: 10-line block ×4, first 2 shown]
	v_add_f16_e32 v43, v28, v108
	v_add_f16_e32 v74, v28, v114
	;; [unrolled: 1-line block ×4, first 2 shown]
	v_add_f16_e64 v114, v28, v132
	v_add_f16_e32 v60, v28, v60
	v_add_f16_e32 v87, v28, v87
	;; [unrolled: 1-line block ×8, first 2 shown]
	v_add_f16_e64 v120, v27, v131
	v_add_f16_e32 v59, v27, v59
	v_add_f16_e32 v40, v27, v40
	;; [unrolled: 1-line block ×23, first 2 shown]
	v_add_f16_e64 v43, v50, v136
	v_add_f16_e32 v50, v74, v115
	v_add_f16_e64 v61, v113, v135
	v_add_f16_e32 v74, v107, v121
	;; [unrolled: 2-line block ×4, first 2 shown]
	v_add_f16_e32 v45, v47, v45
	v_add_f16_e32 v40, v40, v46
	;; [unrolled: 1-line block ×14, first 2 shown]
	v_add_f16_e64 v35, v43, v140
	v_add_f16_e32 v43, v50, v116
	v_add_f16_e64 v50, v61, v139
	v_add_f16_e32 v52, v74, v122
	v_add_f16_e64 v61, v76, v138
	v_add_f16_e64 v63, v107, v128
	v_add_f16_e64 v72, v108, v137
	v_add_f16_e32 v51, v51, v55
	v_add_f16_e32 v44, v45, v44
	;; [unrolled: 1-line block ×15, first 2 shown]
	v_add_f16_e64 v34, v35, v144
	v_add_f16_e32 v35, v43, v117
	v_add_f16_e64 v43, v50, v143
	v_add_f16_e32 v50, v52, v123
	v_add_f16_e64 v52, v61, v142
	v_add_f16_e64 v54, v63, v129
	;; [unrolled: 1-line block ×3, first 2 shown]
	v_add_f16_e32 v42, v44, v42
	v_add_f16_e32 v33, v45, v106
	;; [unrolled: 1-line block ×15, first 2 shown]
	v_add_f16_e64 v32, v34, v148
	v_add_f16_e32 v34, v35, v118
	v_add_f16_e64 v35, v43, v147
	v_add_f16_e32 v43, v50, v124
	v_add_f16_e64 v50, v52, v146
	v_add_f16_e64 v52, v54, v130
	;; [unrolled: 1-line block ×3, first 2 shown]
	v_pack_b32_f16 v27, v27, v28
	v_pack_b32_f16 v28, v46, v45
	v_add_f16_e32 v30, v39, v30
	v_add_f16_e32 v29, v38, v29
	v_pack_b32_f16 v36, v47, v44
	v_pack_b32_f16 v33, v33, v41
	;; [unrolled: 1-line block ×9, first 2 shown]
	s_clause 0xa
	global_store_b32 v[2:3], v28, off offset:672
	global_store_b32 v[2:3], v36, off offset:1008
	;; [unrolled: 1-line block ×7, first 2 shown]
	global_store_b32 v[2:3], v29, off
	global_store_b32 v[2:3], v39, off offset:2688
	global_store_b32 v[2:3], v34, off offset:3024
	;; [unrolled: 1-line block ×3, first 2 shown]
	s_and_b32 exec_lo, exec_lo, s0
	s_cbranch_execz .LBB0_32
; %bb.31:
	v_subrev_nc_u32_e32 v0, 40, v0
	s_delay_alu instid0(VALU_DEP_1) | instskip(NEXT) | instid1(VALU_DEP_1)
	v_cndmask_b32_e64 v0, v0, v6, s0
	v_mul_i32_i24_e32 v0, 10, v0
	s_delay_alu instid0(VALU_DEP_1) | instskip(NEXT) | instid1(VALU_DEP_1)
	v_lshlrev_b64 v[0:1], 2, v[0:1]
	v_add_co_u32 v0, vcc_lo, s4, v0
	s_delay_alu instid0(VALU_DEP_2)
	v_add_co_ci_u32_e32 v1, vcc_lo, s5, v1, vcc_lo
	s_clause 0x2
	global_load_b128 v[31:34], v[0:1], off offset:328
	global_load_b128 v[35:38], v[0:1], off offset:344
	global_load_b64 v[39:40], v[0:1], off offset:360
	s_waitcnt vmcnt(2)
	v_lshrrev_b32_e32 v0, 16, v31
	v_lshrrev_b32_e32 v1, 16, v32
	;; [unrolled: 1-line block ×4, first 2 shown]
	s_waitcnt vmcnt(1)
	v_lshrrev_b32_e32 v28, 16, v35
	v_lshrrev_b32_e32 v41, 16, v37
	;; [unrolled: 1-line block ×3, first 2 shown]
	s_waitcnt vmcnt(0)
	v_lshrrev_b32_e32 v43, 16, v39
	v_lshrrev_b32_e32 v44, 16, v40
	v_mul_f16_e32 v45, v25, v0
	v_mul_f16_e32 v46, v16, v0
	;; [unrolled: 1-line block ×18, first 2 shown]
	v_fma_f16 v16, v16, v31, -v45
	v_fmac_f16_e32 v46, v25, v31
	v_fma_f16 v17, v17, v32, -v47
	v_fmac_f16_e32 v48, v26, v32
	v_fmac_f16_e32 v50, v18, v33
	v_fma_f16 v18, v10, v34, -v6
	v_fma_f16 v6, v7, v40, -v43
	v_fmac_f16_e32 v0, v8, v40
	v_add_f16_e32 v7, v4, v16
	v_add_f16_e32 v8, v5, v46
	v_lshrrev_b32_e32 v29, 16, v36
	v_fma_f16 v25, v9, v33, -v49
	v_fmac_f16_e32 v51, v20, v34
	v_add_f16_e32 v7, v7, v17
	v_add_f16_e32 v8, v8, v48
	v_mul_f16_e32 v53, v22, v29
	v_mul_f16_e32 v29, v12, v29
	v_fma_f16 v20, v11, v35, -v52
	v_add_f16_e32 v7, v7, v25
	v_add_f16_e32 v8, v8, v50
	v_fma_f16 v11, v13, v37, -v54
	v_fma_f16 v9, v15, v39, -v42
	v_fmac_f16_e32 v1, v19, v39
	v_add_f16_e32 v13, v16, v6
	v_sub_f16_e32 v15, v16, v6
	v_sub_f16_e32 v16, v46, v0
	v_fmac_f16_e32 v30, v21, v35
	v_fma_f16 v12, v12, v36, -v53
	v_fmac_f16_e32 v29, v22, v36
	v_fmac_f16_e32 v28, v23, v37
	v_fma_f16 v10, v14, v38, -v41
	v_fmac_f16_e32 v27, v24, v38
	v_add_f16_e32 v7, v7, v18
	v_add_f16_e32 v8, v8, v51
	;; [unrolled: 1-line block ×4, first 2 shown]
	v_sub_f16_e32 v22, v17, v9
	v_sub_f16_e32 v23, v48, v1
	v_mul_f16_e32 v17, 0xb853, v16
	v_mul_f16_e32 v41, 0xb853, v15
	v_sub_f16_e32 v31, v25, v10
	v_sub_f16_e32 v32, v50, v27
	v_sub_f16_e32 v35, v18, v11
	v_sub_f16_e32 v36, v51, v28
	v_sub_f16_e32 v39, v20, v12
	v_sub_f16_e32 v40, v30, v29
	v_mul_f16_e32 v42, 0xbb47, v16
	v_mul_f16_e32 v43, 0xbb47, v15
	;; [unrolled: 1-line block ×8, first 2 shown]
	v_add_f16_e32 v7, v7, v20
	v_add_f16_e32 v8, v8, v30
	;; [unrolled: 1-line block ×5, first 2 shown]
	v_mul_f16_e32 v48, 0xbb47, v23
	v_mul_f16_e32 v49, 0xbb47, v22
	v_fma_f16 v25, v13, 0x3abb, -v17
	v_fmamk_f16 v50, v14, 0x3abb, v41
	v_add_f16_e32 v33, v18, v11
	v_add_f16_e32 v34, v51, v28
	v_add_f16_e32 v37, v20, v12
	v_add_f16_e32 v38, v30, v29
	v_mul_f16_e32 v52, 0xba0c, v23
	v_mul_f16_e32 v53, 0xba0c, v22
	;; [unrolled: 1-line block ×38, first 2 shown]
	v_fmac_f16_e32 v17, 0x3abb, v13
	v_fma_f16 v41, v14, 0x3abb, -v41
	v_fma_f16 v82, v13, 0x36a6, -v42
	v_fmamk_f16 v83, v14, 0x36a6, v43
	v_fmac_f16_e32 v42, 0x36a6, v13
	v_fma_f16 v43, v14, 0x36a6, -v43
	v_fma_f16 v84, v13, 0xb08e, -v44
	v_fmamk_f16 v85, v14, 0xb08e, v45
	;; [unrolled: 4-line block ×4, first 2 shown]
	v_fmac_f16_e32 v16, 0xbbad, v13
	v_fma_f16 v13, v14, 0xbbad, -v15
	v_add_f16_e32 v7, v7, v12
	v_add_f16_e32 v8, v8, v29
	v_fma_f16 v14, v19, 0x36a6, -v48
	v_fmamk_f16 v15, v21, 0x36a6, v49
	v_add_f16_e32 v18, v4, v25
	v_add_f16_e32 v25, v5, v50
	v_fmac_f16_e32 v48, 0x36a6, v19
	v_fma_f16 v49, v21, 0x36a6, -v49
	v_fma_f16 v90, v19, 0xb93d, -v52
	v_fmamk_f16 v91, v21, 0xb93d, v53
	v_fmac_f16_e32 v52, 0xb93d, v19
	v_fma_f16 v53, v21, 0xb93d, -v53
	v_fma_f16 v92, v19, 0xbbad, -v54
	v_fmamk_f16 v93, v21, 0xbbad, v55
	;; [unrolled: 4-line block ×19, first 2 shown]
	v_fmac_f16_e32 v40, 0xb08e, v37
	v_fma_f16 v37, v38, 0xb08e, -v39
	v_add_f16_e32 v17, v4, v17
	v_add_f16_e32 v38, v5, v41
	;; [unrolled: 1-line block ×106, first 2 shown]
	v_pack_b32_f16 v0, v6, v0
	v_pack_b32_f16 v8, v10, v11
	;; [unrolled: 1-line block ×11, first 2 shown]
	s_clause 0xa
	global_store_b32 v[2:3], v0, off offset:176
	global_store_b32 v[2:3], v8, off offset:512
	;; [unrolled: 1-line block ×11, first 2 shown]
.LBB0_32:
	s_nop 0
	s_sendmsg sendmsg(MSG_DEALLOC_VGPRS)
	s_endpgm
	.section	.rodata,"a",@progbits
	.p2align	6, 0x0
	.amdhsa_kernel fft_rtc_fwd_len924_factors_2_2_3_7_11_wgs_44_tpt_44_halfLds_half_ip_CI_unitstride_sbrr_dirReg
		.amdhsa_group_segment_fixed_size 0
		.amdhsa_private_segment_fixed_size 0
		.amdhsa_kernarg_size 88
		.amdhsa_user_sgpr_count 15
		.amdhsa_user_sgpr_dispatch_ptr 0
		.amdhsa_user_sgpr_queue_ptr 0
		.amdhsa_user_sgpr_kernarg_segment_ptr 1
		.amdhsa_user_sgpr_dispatch_id 0
		.amdhsa_user_sgpr_private_segment_size 0
		.amdhsa_wavefront_size32 1
		.amdhsa_uses_dynamic_stack 0
		.amdhsa_enable_private_segment 0
		.amdhsa_system_sgpr_workgroup_id_x 1
		.amdhsa_system_sgpr_workgroup_id_y 0
		.amdhsa_system_sgpr_workgroup_id_z 0
		.amdhsa_system_sgpr_workgroup_info 0
		.amdhsa_system_vgpr_workitem_id 0
		.amdhsa_next_free_vgpr 149
		.amdhsa_next_free_sgpr 21
		.amdhsa_reserve_vcc 1
		.amdhsa_float_round_mode_32 0
		.amdhsa_float_round_mode_16_64 0
		.amdhsa_float_denorm_mode_32 3
		.amdhsa_float_denorm_mode_16_64 3
		.amdhsa_dx10_clamp 1
		.amdhsa_ieee_mode 1
		.amdhsa_fp16_overflow 0
		.amdhsa_workgroup_processor_mode 1
		.amdhsa_memory_ordered 1
		.amdhsa_forward_progress 0
		.amdhsa_shared_vgpr_count 0
		.amdhsa_exception_fp_ieee_invalid_op 0
		.amdhsa_exception_fp_denorm_src 0
		.amdhsa_exception_fp_ieee_div_zero 0
		.amdhsa_exception_fp_ieee_overflow 0
		.amdhsa_exception_fp_ieee_underflow 0
		.amdhsa_exception_fp_ieee_inexact 0
		.amdhsa_exception_int_div_zero 0
	.end_amdhsa_kernel
	.text
.Lfunc_end0:
	.size	fft_rtc_fwd_len924_factors_2_2_3_7_11_wgs_44_tpt_44_halfLds_half_ip_CI_unitstride_sbrr_dirReg, .Lfunc_end0-fft_rtc_fwd_len924_factors_2_2_3_7_11_wgs_44_tpt_44_halfLds_half_ip_CI_unitstride_sbrr_dirReg
                                        ; -- End function
	.section	.AMDGPU.csdata,"",@progbits
; Kernel info:
; codeLenInByte = 14224
; NumSgprs: 23
; NumVgprs: 149
; ScratchSize: 0
; MemoryBound: 0
; FloatMode: 240
; IeeeMode: 1
; LDSByteSize: 0 bytes/workgroup (compile time only)
; SGPRBlocks: 2
; VGPRBlocks: 18
; NumSGPRsForWavesPerEU: 23
; NumVGPRsForWavesPerEU: 149
; Occupancy: 9
; WaveLimiterHint : 1
; COMPUTE_PGM_RSRC2:SCRATCH_EN: 0
; COMPUTE_PGM_RSRC2:USER_SGPR: 15
; COMPUTE_PGM_RSRC2:TRAP_HANDLER: 0
; COMPUTE_PGM_RSRC2:TGID_X_EN: 1
; COMPUTE_PGM_RSRC2:TGID_Y_EN: 0
; COMPUTE_PGM_RSRC2:TGID_Z_EN: 0
; COMPUTE_PGM_RSRC2:TIDIG_COMP_CNT: 0
	.text
	.p2alignl 7, 3214868480
	.fill 96, 4, 3214868480
	.type	__hip_cuid_4d71cf5e3781ed26,@object ; @__hip_cuid_4d71cf5e3781ed26
	.section	.bss,"aw",@nobits
	.globl	__hip_cuid_4d71cf5e3781ed26
__hip_cuid_4d71cf5e3781ed26:
	.byte	0                               ; 0x0
	.size	__hip_cuid_4d71cf5e3781ed26, 1

	.ident	"AMD clang version 19.0.0git (https://github.com/RadeonOpenCompute/llvm-project roc-6.4.0 25133 c7fe45cf4b819c5991fe208aaa96edf142730f1d)"
	.section	".note.GNU-stack","",@progbits
	.addrsig
	.addrsig_sym __hip_cuid_4d71cf5e3781ed26
	.amdgpu_metadata
---
amdhsa.kernels:
  - .args:
      - .actual_access:  read_only
        .address_space:  global
        .offset:         0
        .size:           8
        .value_kind:     global_buffer
      - .offset:         8
        .size:           8
        .value_kind:     by_value
      - .actual_access:  read_only
        .address_space:  global
        .offset:         16
        .size:           8
        .value_kind:     global_buffer
      - .actual_access:  read_only
        .address_space:  global
        .offset:         24
        .size:           8
        .value_kind:     global_buffer
      - .offset:         32
        .size:           8
        .value_kind:     by_value
      - .actual_access:  read_only
        .address_space:  global
        .offset:         40
        .size:           8
        .value_kind:     global_buffer
      - .actual_access:  read_only
        .address_space:  global
        .offset:         48
        .size:           8
        .value_kind:     global_buffer
      - .offset:         56
        .size:           4
        .value_kind:     by_value
      - .actual_access:  read_only
        .address_space:  global
        .offset:         64
        .size:           8
        .value_kind:     global_buffer
      - .actual_access:  read_only
        .address_space:  global
        .offset:         72
        .size:           8
        .value_kind:     global_buffer
      - .address_space:  global
        .offset:         80
        .size:           8
        .value_kind:     global_buffer
    .group_segment_fixed_size: 0
    .kernarg_segment_align: 8
    .kernarg_segment_size: 88
    .language:       OpenCL C
    .language_version:
      - 2
      - 0
    .max_flat_workgroup_size: 44
    .name:           fft_rtc_fwd_len924_factors_2_2_3_7_11_wgs_44_tpt_44_halfLds_half_ip_CI_unitstride_sbrr_dirReg
    .private_segment_fixed_size: 0
    .sgpr_count:     23
    .sgpr_spill_count: 0
    .symbol:         fft_rtc_fwd_len924_factors_2_2_3_7_11_wgs_44_tpt_44_halfLds_half_ip_CI_unitstride_sbrr_dirReg.kd
    .uniform_work_group_size: 1
    .uses_dynamic_stack: false
    .vgpr_count:     149
    .vgpr_spill_count: 0
    .wavefront_size: 32
    .workgroup_processor_mode: 1
amdhsa.target:   amdgcn-amd-amdhsa--gfx1100
amdhsa.version:
  - 1
  - 2
...

	.end_amdgpu_metadata
